;; amdgpu-corpus repo=zjin-lcf/HeCBench kind=compiled arch=gfx906 opt=O3
	.amdgcn_target "amdgcn-amd-amdhsa--gfx906"
	.amdhsa_code_object_version 6
	.section	.text._Z14Code1x16MatVecILj64EEvPK15HIP_vector_typeIiLj4EES3_PS1_S3_iiS1_i,"axG",@progbits,_Z14Code1x16MatVecILj64EEvPK15HIP_vector_typeIiLj4EES3_PS1_S3_iiS1_i,comdat
	.protected	_Z14Code1x16MatVecILj64EEvPK15HIP_vector_typeIiLj4EES3_PS1_S3_iiS1_i ; -- Begin function _Z14Code1x16MatVecILj64EEvPK15HIP_vector_typeIiLj4EES3_PS1_S3_iiS1_i
	.globl	_Z14Code1x16MatVecILj64EEvPK15HIP_vector_typeIiLj4EES3_PS1_S3_iiS1_i
	.p2align	8
	.type	_Z14Code1x16MatVecILj64EEvPK15HIP_vector_typeIiLj4EES3_PS1_S3_iiS1_i,@function
_Z14Code1x16MatVecILj64EEvPK15HIP_vector_typeIiLj4EES3_PS1_S3_iiS1_i: ; @_Z14Code1x16MatVecILj64EEvPK15HIP_vector_typeIiLj4EES3_PS1_S3_iiS1_i
; %bb.0:
	s_load_dwordx4 s[20:23], s[4:5], 0x30
	s_load_dwordx2 s[16:17], s[4:5], 0x20
	s_load_dwordx8 s[8:15], s[4:5], 0x0
	s_add_u32 s0, s0, s7
	s_addc_u32 s1, s1, 0
	s_waitcnt lgkmcnt(0)
	v_mov_b32_e32 v1, s21
	buffer_store_dword v1, off, s[0:3], 0 offset:4
	v_mov_b32_e32 v1, s22
	s_load_dword s22, s[4:5], 0x54
	buffer_store_dword v1, off, s[0:3], 0 offset:8
	v_mov_b32_e32 v1, s23
	buffer_store_dword v1, off, s[0:3], 0 offset:12
	v_mov_b32_e32 v1, s20
	s_waitcnt lgkmcnt(0)
	s_bfe_u32 s7, s22, 0xa0006
	buffer_store_dword v1, off, s[0:3], 0
	s_mul_i32 s7, s7, s6
	v_lshrrev_b32_e32 v1, 6, v0
	v_add_u32_e32 v5, s7, v1
	v_cmp_gt_i32_e32 vcc, s16, v5
	v_cmp_le_i32_e64 s[6:7], s20, v5
	v_mov_b32_e32 v6, s14
	s_and_b64 s[18:19], vcc, s[6:7]
	v_mov_b32_e32 v7, s15
	s_and_saveexec_b64 s[6:7], s[18:19]
	s_cbranch_execz .LBB0_4
; %bb.1:
	s_load_dword s4, s[4:5], 0x40
	s_or_b32 s16, 0, 4
	s_mov_b64 s[18:19], 0
	s_waitcnt lgkmcnt(0)
	s_ashr_i32 s5, s4, 31
	s_lshl_b64 s[20:21], s[4:5], 4
.LBB0_2:                                ; =>This Inner Loop Header: Depth=1
	v_mov_b32_e32 v1, s16
	buffer_load_dword v1, v1, s[0:3], 0 offen
	s_add_u32 s14, s14, s20
	s_addc_u32 s15, s15, s21
	s_add_i32 s16, s16, 4
	v_mov_b32_e32 v6, s14
	v_mov_b32_e32 v7, s15
	s_waitcnt vmcnt(0)
	v_cmp_lt_i32_e64 s[4:5], v5, v1
	s_or_b64 s[18:19], s[4:5], s[18:19]
	s_andn2_b64 exec, exec, s[18:19]
	s_cbranch_execnz .LBB0_2
; %bb.3:
	s_or_b64 exec, exec, s[18:19]
.LBB0_4:
	s_or_b64 exec, exec, s[6:7]
	s_ashr_i32 s4, s17, 31
	s_lshr_b32 s5, s4, 29
	s_add_i32 s5, s17, s5
	s_ashr_i32 s21, s5, 3
	s_and_b32 s20, s22, 0xffff
	s_add_i32 s5, s21, 0x1ff
	v_and_b32_e32 v10, 63, v0
	s_movk_i32 s22, 0x1ff
	v_mov_b32_e32 v11, 0
	s_cmpk_lt_u32 s5, 0x200
	s_movk_i32 s6, 0x200
	s_cbranch_scc1 .LBB0_14
; %bb.5:
	s_lshr_b32 s4, s4, 26
	s_add_i32 s4, s17, s4
	s_ashr_i32 s7, s4, 6
	v_mul_lo_u32 v1, v5, s7
	s_lshr_b32 s23, s5, 9
	v_cmp_gt_u32_e64 s[4:5], s6, v0
	v_mov_b32_e32 v11, 0
	v_add_u32_e32 v12, s7, v1
	v_add_u32_e32 v8, v1, v10
	v_mul_u32_u24_e32 v1, 9, v10
	v_lshlrev_b32_e32 v13, 4, v1
	s_mov_b32 s24, 0
	s_movk_i32 s25, 0x90
	v_mov_b32_e32 v14, 4
	s_branch .LBB0_7
.LBB0_6:                                ;   in Loop: Header=BB0_7 Depth=1
	s_or_b64 exec, exec, s[14:15]
	s_addk_i32 s24, 0x200
	s_add_i32 s23, s23, -1
	s_cmp_lg_u32 s23, 0
	s_cbranch_scc0 .LBB0_14
.LBB0_7:                                ; =>This Loop Header: Depth=1
                                        ;     Child Loop BB0_10 Depth 2
	s_waitcnt vmcnt(0)
	s_barrier
	s_and_saveexec_b64 s[14:15], s[4:5]
	s_cbranch_execz .LBB0_12
; %bb.8:                                ;   in Loop: Header=BB0_7 Depth=1
	s_mov_b64 s[16:17], 0
	v_mov_b32_e32 v3, v0
	s_branch .LBB0_10
.LBB0_9:                                ;   in Loop: Header=BB0_10 Depth=2
	s_or_b64 exec, exec, s[18:19]
	v_add_u32_e32 v3, s20, v3
	v_cmp_lt_u32_e64 s[6:7], s22, v3
	s_or_b64 s[16:17], s[6:7], s[16:17]
	s_andn2_b64 exec, exec, s[16:17]
	s_cbranch_execz .LBB0_12
.LBB0_10:                               ;   Parent Loop BB0_7 Depth=1
                                        ; =>  This Inner Loop Header: Depth=2
	v_add_u32_e32 v1, s24, v3
	v_cmp_gt_i32_e64 s[6:7], s21, v1
	s_and_saveexec_b64 s[18:19], s[6:7]
	s_cbranch_execz .LBB0_9
; %bb.11:                               ;   in Loop: Header=BB0_10 Depth=2
	v_ashrrev_i32_e32 v2, 31, v1
	v_lshlrev_b64 v[1:2], 4, v[1:2]
	v_mov_b32_e32 v4, s11
	v_add_co_u32_e64 v1, s[6:7], s10, v1
	v_addc_co_u32_e64 v2, s[6:7], v4, v2, s[6:7]
	global_load_dwordx4 v[15:18], v[1:2], off
	v_and_b32_e32 v2, 7, v3
	v_lshrrev_b32_e32 v1, 3, v3
	v_lshlrev_b32_e32 v2, 4, v2
	v_mad_i32_i24 v1, v1, s25, v2
	s_waitcnt vmcnt(0)
	ds_write_b128 v1, v[15:18]
	s_branch .LBB0_9
.LBB0_12:                               ;   in Loop: Header=BB0_7 Depth=1
	s_or_b64 exec, exec, s[14:15]
	v_cmp_lt_i32_e64 s[6:7], v8, v12
	s_and_b64 s[6:7], vcc, s[6:7]
	s_waitcnt lgkmcnt(0)
	s_barrier
	s_and_saveexec_b64 s[14:15], s[6:7]
	s_cbranch_execz .LBB0_6
; %bb.13:                               ;   in Loop: Header=BB0_7 Depth=1
	v_ashrrev_i32_e32 v9, 31, v8
	v_lshlrev_b64 v[1:2], 4, v[8:9]
	v_mov_b32_e32 v3, s9
	v_add_co_u32_e64 v1, s[6:7], s8, v1
	v_addc_co_u32_e64 v2, s[6:7], v3, v2, s[6:7]
	global_load_dwordx4 v[1:4], v[1:2], off
	ds_read_b128 v[19:22], v13
	v_add_u32_e32 v8, 64, v8
	s_waitcnt vmcnt(0)
	v_lshlrev_b32_sdwa v9, v14, v1 dst_sel:DWORD dst_unused:UNUSED_PAD src0_sel:DWORD src1_sel:WORD_0
	v_add_co_u32_e64 v15, s[6:7], v6, v9
	v_addc_co_u32_e64 v16, s[6:7], 0, v7, s[6:7]
	global_load_dwordx4 v[15:18], v[15:16], off
	v_lshlrev_b32_sdwa v9, v14, v1 dst_sel:DWORD dst_unused:UNUSED_PAD src0_sel:DWORD src1_sel:WORD_1
	s_waitcnt vmcnt(0) lgkmcnt(0)
	v_pk_fma_f16 v1, v15, v19, 0
	v_pk_fma_f16 v1, v16, v20, v1
	v_add_co_u32_e64 v15, s[6:7], v6, v9
	v_pk_fma_f16 v1, v17, v21, v1
	v_addc_co_u32_e64 v16, s[6:7], 0, v7, s[6:7]
	v_pk_fma_f16 v1, v18, v22, v1
	global_load_dwordx4 v[15:18], v[15:16], off
	ds_read_b128 v[19:22], v13 offset:16
	s_waitcnt vmcnt(0) lgkmcnt(0)
	v_pk_fma_f16 v9, v15, v19, 0
	v_lshlrev_b32_sdwa v15, v14, v2 dst_sel:DWORD dst_unused:UNUSED_PAD src0_sel:DWORD src1_sel:WORD_0
	v_pk_fma_f16 v9, v16, v20, v9
	v_add_co_u32_e64 v15, s[6:7], v6, v15
	v_pk_fma_f16 v9, v17, v21, v9
	v_addc_co_u32_e64 v16, s[6:7], 0, v7, s[6:7]
	v_pk_fma_f16 v9, v18, v22, v9
	global_load_dwordx4 v[15:18], v[15:16], off
	ds_read_b128 v[19:22], v13 offset:32
	v_lshlrev_b32_sdwa v2, v14, v2 dst_sel:DWORD dst_unused:UNUSED_PAD src0_sel:DWORD src1_sel:WORD_1
	s_waitcnt vmcnt(0) lgkmcnt(0)
	v_pk_fma_f16 v15, v15, v19, 0
	v_pk_fma_f16 v15, v16, v20, v15
	;; [unrolled: 1-line block ×4, first 2 shown]
	v_add_co_u32_e64 v15, s[6:7], v6, v2
	v_addc_co_u32_e64 v16, s[6:7], 0, v7, s[6:7]
	global_load_dwordx4 v[15:18], v[15:16], off
	ds_read_b128 v[19:22], v13 offset:48
	s_waitcnt vmcnt(0) lgkmcnt(0)
	v_pk_fma_f16 v2, v15, v19, 0
	v_pk_fma_f16 v2, v16, v20, v2
	;; [unrolled: 1-line block ×4, first 2 shown]
	v_lshlrev_b32_sdwa v2, v14, v3 dst_sel:DWORD dst_unused:UNUSED_PAD src0_sel:DWORD src1_sel:WORD_0
	v_add_co_u32_e64 v15, s[6:7], v6, v2
	v_addc_co_u32_e64 v16, s[6:7], 0, v7, s[6:7]
	global_load_dwordx4 v[15:18], v[15:16], off
	ds_read_b128 v[19:22], v13 offset:64
	s_waitcnt vmcnt(0) lgkmcnt(0)
	v_pk_fma_f16 v2, v15, v19, 0
	v_pk_fma_f16 v2, v16, v20, v2
	;; [unrolled: 1-line block ×4, first 2 shown]
	v_lshlrev_b32_sdwa v2, v14, v3 dst_sel:DWORD dst_unused:UNUSED_PAD src0_sel:DWORD src1_sel:WORD_1
	v_add_co_u32_e64 v2, s[6:7], v6, v2
	v_addc_co_u32_e64 v3, s[6:7], 0, v7, s[6:7]
	global_load_dwordx4 v[15:18], v[2:3], off
	ds_read_b128 v[19:22], v13 offset:80
	s_waitcnt vmcnt(0) lgkmcnt(0)
	v_pk_fma_f16 v2, v15, v19, 0
	v_pk_fma_f16 v2, v16, v20, v2
	;; [unrolled: 1-line block ×4, first 2 shown]
	v_lshlrev_b32_sdwa v2, v14, v4 dst_sel:DWORD dst_unused:UNUSED_PAD src0_sel:DWORD src1_sel:WORD_0
	v_add_co_u32_e64 v2, s[6:7], v6, v2
	v_addc_co_u32_e64 v3, s[6:7], 0, v7, s[6:7]
	global_load_dwordx4 v[15:18], v[2:3], off
	ds_read_b128 v[19:22], v13 offset:96
	s_waitcnt vmcnt(0) lgkmcnt(0)
	v_pk_fma_f16 v2, v15, v19, 0
	v_pk_fma_f16 v2, v16, v20, v2
	;; [unrolled: 1-line block ×4, first 2 shown]
	v_lshlrev_b32_sdwa v2, v14, v4 dst_sel:DWORD dst_unused:UNUSED_PAD src0_sel:DWORD src1_sel:WORD_1
	v_add_co_u32_e64 v2, s[6:7], v6, v2
	v_addc_co_u32_e64 v3, s[6:7], 0, v7, s[6:7]
	global_load_dwordx4 v[15:18], v[2:3], off
	ds_read_b128 v[19:22], v13 offset:112
	v_cvt_f32_f16_e32 v3, v1
	v_cvt_f32_f16_sdwa v1, v1 dst_sel:DWORD dst_unused:UNUSED_PAD src0_sel:WORD_1
	v_cvt_f32_f16_e32 v4, v9
	v_cvt_f32_f16_sdwa v9, v9 dst_sel:DWORD dst_unused:UNUSED_PAD src0_sel:WORD_1
	v_add_f32_e32 v1, v3, v1
	v_add_f32_e32 v1, v11, v1
	;; [unrolled: 1-line block ×3, first 2 shown]
	v_cvt_f32_f16_e32 v3, v27
	v_add_f32_e32 v1, v1, v4
	s_waitcnt vmcnt(0) lgkmcnt(0)
	v_pk_fma_f16 v2, v15, v19, 0
	v_pk_fma_f16 v2, v16, v20, v2
	;; [unrolled: 1-line block ×3, first 2 shown]
	v_cvt_f32_f16_e32 v15, v23
	v_cvt_f32_f16_sdwa v16, v23 dst_sel:DWORD dst_unused:UNUSED_PAD src0_sel:WORD_1
	v_pk_fma_f16 v2, v18, v22, v2
	v_cvt_f32_f16_e32 v17, v24
	v_cvt_f32_f16_sdwa v18, v24 dst_sel:DWORD dst_unused:UNUSED_PAD src0_sel:WORD_1
	v_cvt_f32_f16_e32 v19, v25
	v_cvt_f32_f16_sdwa v20, v25 dst_sel:DWORD dst_unused:UNUSED_PAD src0_sel:WORD_1
	;; [unrolled: 2-line block ×3, first 2 shown]
	v_cvt_f32_f16_sdwa v23, v27 dst_sel:DWORD dst_unused:UNUSED_PAD src0_sel:WORD_1
	v_add_f32_e32 v15, v15, v16
	v_cvt_f32_f16_e32 v9, v2
	v_cvt_f32_f16_sdwa v2, v2 dst_sel:DWORD dst_unused:UNUSED_PAD src0_sel:WORD_1
	v_add_f32_e32 v16, v17, v18
	v_add_f32_e32 v1, v1, v15
	;; [unrolled: 1-line block ×11, first 2 shown]
	s_branch .LBB0_6
.LBB0_14:
	s_and_saveexec_b64 s[4:5], vcc
	s_cbranch_execz .LBB0_17
; %bb.15:
	v_mbcnt_lo_u32_b32 v0, -1, 0
	v_mbcnt_hi_u32_b32 v0, -1, v0
	v_mov_b32_e32 v1, 0x80
	v_lshl_or_b32 v1, v0, 2, v1
	ds_bpermute_b32 v1, v1, v11
	v_and_b32_e32 v2, 63, v0
	v_cmp_gt_u32_e32 vcc, 48, v2
	v_cndmask_b32_e64 v3, 0, 16, vcc
	v_add_lshl_u32 v3, v3, v0, 2
	s_waitcnt lgkmcnt(0)
	v_add_f32_e32 v1, v11, v1
	ds_bpermute_b32 v3, v3, v1
	v_cmp_gt_u32_e32 vcc, 56, v2
	v_cndmask_b32_e64 v4, 0, 8, vcc
	v_add_lshl_u32 v4, v4, v0, 2
	v_cmp_gt_u32_e32 vcc, 60, v2
	s_waitcnt lgkmcnt(0)
	v_add_f32_e32 v1, v1, v3
	ds_bpermute_b32 v3, v4, v1
	v_cndmask_b32_e64 v4, 0, 4, vcc
	v_add_lshl_u32 v4, v4, v0, 2
	v_cmp_gt_u32_e32 vcc, 62, v2
	s_waitcnt lgkmcnt(0)
	v_add_f32_e32 v1, v1, v3
	ds_bpermute_b32 v3, v4, v1
	v_cndmask_b32_e64 v4, 0, 2, vcc
	v_add_lshl_u32 v4, v4, v0, 2
	v_cmp_ne_u32_e32 vcc, 63, v2
	v_addc_co_u32_e32 v2, vcc, 0, v0, vcc
	s_waitcnt lgkmcnt(0)
	v_add_f32_e32 v1, v1, v3
	ds_bpermute_b32 v3, v4, v1
	v_cmp_eq_u32_e32 vcc, 0, v10
	s_waitcnt lgkmcnt(0)
	v_add_f32_e32 v0, v1, v3
	v_lshlrev_b32_e32 v1, 2, v2
	ds_bpermute_b32 v1, v1, v0
	s_and_b64 exec, exec, vcc
	s_cbranch_execz .LBB0_17
; %bb.16:
	s_waitcnt lgkmcnt(0)
	v_add_f32_e32 v2, v0, v1
	v_ashrrev_i32_e32 v6, 31, v5
	v_lshlrev_b64 v[0:1], 1, v[5:6]
	v_cvt_f16_f32_e32 v2, v2
	v_mov_b32_e32 v3, s13
	v_add_co_u32_e32 v0, vcc, s12, v0
	v_addc_co_u32_e32 v1, vcc, v3, v1, vcc
	global_store_short v[0:1], v2, off
.LBB0_17:
	s_endpgm
	.section	.rodata,"a",@progbits
	.p2align	6, 0x0
	.amdhsa_kernel _Z14Code1x16MatVecILj64EEvPK15HIP_vector_typeIiLj4EES3_PS1_S3_iiS1_i
		.amdhsa_group_segment_fixed_size 9216
		.amdhsa_private_segment_fixed_size 32
		.amdhsa_kernarg_size 328
		.amdhsa_user_sgpr_count 6
		.amdhsa_user_sgpr_private_segment_buffer 1
		.amdhsa_user_sgpr_dispatch_ptr 0
		.amdhsa_user_sgpr_queue_ptr 0
		.amdhsa_user_sgpr_kernarg_segment_ptr 1
		.amdhsa_user_sgpr_dispatch_id 0
		.amdhsa_user_sgpr_flat_scratch_init 0
		.amdhsa_user_sgpr_private_segment_size 0
		.amdhsa_uses_dynamic_stack 0
		.amdhsa_system_sgpr_private_segment_wavefront_offset 1
		.amdhsa_system_sgpr_workgroup_id_x 1
		.amdhsa_system_sgpr_workgroup_id_y 0
		.amdhsa_system_sgpr_workgroup_id_z 0
		.amdhsa_system_sgpr_workgroup_info 0
		.amdhsa_system_vgpr_workitem_id 0
		.amdhsa_next_free_vgpr 29
		.amdhsa_next_free_sgpr 61
		.amdhsa_reserve_vcc 1
		.amdhsa_reserve_flat_scratch 0
		.amdhsa_float_round_mode_32 0
		.amdhsa_float_round_mode_16_64 0
		.amdhsa_float_denorm_mode_32 3
		.amdhsa_float_denorm_mode_16_64 3
		.amdhsa_dx10_clamp 1
		.amdhsa_ieee_mode 1
		.amdhsa_fp16_overflow 0
		.amdhsa_exception_fp_ieee_invalid_op 0
		.amdhsa_exception_fp_denorm_src 0
		.amdhsa_exception_fp_ieee_div_zero 0
		.amdhsa_exception_fp_ieee_overflow 0
		.amdhsa_exception_fp_ieee_underflow 0
		.amdhsa_exception_fp_ieee_inexact 0
		.amdhsa_exception_int_div_zero 0
	.end_amdhsa_kernel
	.section	.text._Z14Code1x16MatVecILj64EEvPK15HIP_vector_typeIiLj4EES3_PS1_S3_iiS1_i,"axG",@progbits,_Z14Code1x16MatVecILj64EEvPK15HIP_vector_typeIiLj4EES3_PS1_S3_iiS1_i,comdat
.Lfunc_end0:
	.size	_Z14Code1x16MatVecILj64EEvPK15HIP_vector_typeIiLj4EES3_PS1_S3_iiS1_i, .Lfunc_end0-_Z14Code1x16MatVecILj64EEvPK15HIP_vector_typeIiLj4EES3_PS1_S3_iiS1_i
                                        ; -- End function
	.set _Z14Code1x16MatVecILj64EEvPK15HIP_vector_typeIiLj4EES3_PS1_S3_iiS1_i.num_vgpr, 28
	.set _Z14Code1x16MatVecILj64EEvPK15HIP_vector_typeIiLj4EES3_PS1_S3_iiS1_i.num_agpr, 0
	.set _Z14Code1x16MatVecILj64EEvPK15HIP_vector_typeIiLj4EES3_PS1_S3_iiS1_i.numbered_sgpr, 26
	.set _Z14Code1x16MatVecILj64EEvPK15HIP_vector_typeIiLj4EES3_PS1_S3_iiS1_i.num_named_barrier, 0
	.set _Z14Code1x16MatVecILj64EEvPK15HIP_vector_typeIiLj4EES3_PS1_S3_iiS1_i.private_seg_size, 32
	.set _Z14Code1x16MatVecILj64EEvPK15HIP_vector_typeIiLj4EES3_PS1_S3_iiS1_i.uses_vcc, 1
	.set _Z14Code1x16MatVecILj64EEvPK15HIP_vector_typeIiLj4EES3_PS1_S3_iiS1_i.uses_flat_scratch, 0
	.set _Z14Code1x16MatVecILj64EEvPK15HIP_vector_typeIiLj4EES3_PS1_S3_iiS1_i.has_dyn_sized_stack, 0
	.set _Z14Code1x16MatVecILj64EEvPK15HIP_vector_typeIiLj4EES3_PS1_S3_iiS1_i.has_recursion, 0
	.set _Z14Code1x16MatVecILj64EEvPK15HIP_vector_typeIiLj4EES3_PS1_S3_iiS1_i.has_indirect_call, 0
	.section	.AMDGPU.csdata,"",@progbits
; Kernel info:
; codeLenInByte = 1672
; TotalNumSgprs: 30
; NumVgprs: 28
; ScratchSize: 32
; MemoryBound: 0
; FloatMode: 240
; IeeeMode: 1
; LDSByteSize: 9216 bytes/workgroup (compile time only)
; SGPRBlocks: 8
; VGPRBlocks: 7
; NumSGPRsForWavesPerEU: 65
; NumVGPRsForWavesPerEU: 29
; Occupancy: 8
; WaveLimiterHint : 1
; COMPUTE_PGM_RSRC2:SCRATCH_EN: 1
; COMPUTE_PGM_RSRC2:USER_SGPR: 6
; COMPUTE_PGM_RSRC2:TRAP_HANDLER: 0
; COMPUTE_PGM_RSRC2:TGID_X_EN: 1
; COMPUTE_PGM_RSRC2:TGID_Y_EN: 0
; COMPUTE_PGM_RSRC2:TGID_Z_EN: 0
; COMPUTE_PGM_RSRC2:TIDIG_COMP_CNT: 0
	.section	.text._Z14Code1x16MatVecILj32EEvPK15HIP_vector_typeIiLj4EES3_PS1_S3_iiS1_i,"axG",@progbits,_Z14Code1x16MatVecILj32EEvPK15HIP_vector_typeIiLj4EES3_PS1_S3_iiS1_i,comdat
	.protected	_Z14Code1x16MatVecILj32EEvPK15HIP_vector_typeIiLj4EES3_PS1_S3_iiS1_i ; -- Begin function _Z14Code1x16MatVecILj32EEvPK15HIP_vector_typeIiLj4EES3_PS1_S3_iiS1_i
	.globl	_Z14Code1x16MatVecILj32EEvPK15HIP_vector_typeIiLj4EES3_PS1_S3_iiS1_i
	.p2align	8
	.type	_Z14Code1x16MatVecILj32EEvPK15HIP_vector_typeIiLj4EES3_PS1_S3_iiS1_i,@function
_Z14Code1x16MatVecILj32EEvPK15HIP_vector_typeIiLj4EES3_PS1_S3_iiS1_i: ; @_Z14Code1x16MatVecILj32EEvPK15HIP_vector_typeIiLj4EES3_PS1_S3_iiS1_i
; %bb.0:
	s_load_dwordx4 s[20:23], s[4:5], 0x30
	s_load_dwordx2 s[16:17], s[4:5], 0x20
	s_load_dwordx8 s[8:15], s[4:5], 0x0
	s_add_u32 s0, s0, s7
	s_addc_u32 s1, s1, 0
	s_waitcnt lgkmcnt(0)
	v_mov_b32_e32 v1, s21
	buffer_store_dword v1, off, s[0:3], 0 offset:4
	v_mov_b32_e32 v1, s22
	s_load_dword s22, s[4:5], 0x54
	buffer_store_dword v1, off, s[0:3], 0 offset:8
	v_mov_b32_e32 v1, s23
	buffer_store_dword v1, off, s[0:3], 0 offset:12
	v_mov_b32_e32 v1, s20
	s_waitcnt lgkmcnt(0)
	s_bfe_u32 s7, s22, 0xb0005
	buffer_store_dword v1, off, s[0:3], 0
	s_mul_i32 s7, s7, s6
	v_lshrrev_b32_e32 v1, 5, v0
	v_add_u32_e32 v5, s7, v1
	v_cmp_gt_i32_e32 vcc, s16, v5
	v_cmp_le_i32_e64 s[6:7], s20, v5
	v_mov_b32_e32 v6, s14
	s_and_b64 s[18:19], vcc, s[6:7]
	v_mov_b32_e32 v7, s15
	s_and_saveexec_b64 s[6:7], s[18:19]
	s_cbranch_execz .LBB1_4
; %bb.1:
	s_load_dword s4, s[4:5], 0x40
	s_or_b32 s16, 0, 4
	s_mov_b64 s[18:19], 0
	s_waitcnt lgkmcnt(0)
	s_ashr_i32 s5, s4, 31
	s_lshl_b64 s[20:21], s[4:5], 4
.LBB1_2:                                ; =>This Inner Loop Header: Depth=1
	v_mov_b32_e32 v1, s16
	buffer_load_dword v1, v1, s[0:3], 0 offen
	s_add_u32 s14, s14, s20
	s_addc_u32 s15, s15, s21
	s_add_i32 s16, s16, 4
	v_mov_b32_e32 v6, s14
	v_mov_b32_e32 v7, s15
	s_waitcnt vmcnt(0)
	v_cmp_lt_i32_e64 s[4:5], v5, v1
	s_or_b64 s[18:19], s[4:5], s[18:19]
	s_andn2_b64 exec, exec, s[18:19]
	s_cbranch_execnz .LBB1_2
; %bb.3:
	s_or_b64 exec, exec, s[18:19]
.LBB1_4:
	s_or_b64 exec, exec, s[6:7]
	s_ashr_i32 s4, s17, 31
	s_lshr_b32 s5, s4, 29
	s_add_i32 s5, s17, s5
	s_ashr_i32 s21, s5, 3
	s_and_b32 s20, s22, 0xffff
	s_add_i32 s5, s21, 0xff
	v_and_b32_e32 v10, 31, v0
	s_movk_i32 s22, 0xff
	v_mov_b32_e32 v11, 0
	s_cmpk_lt_u32 s5, 0x100
	s_movk_i32 s6, 0x100
	s_cbranch_scc1 .LBB1_14
; %bb.5:
	s_lshr_b32 s4, s4, 26
	s_add_i32 s4, s17, s4
	s_ashr_i32 s7, s4, 6
	v_mul_lo_u32 v1, v5, s7
	s_lshr_b32 s23, s5, 8
	v_cmp_gt_u32_e64 s[4:5], s6, v0
	v_mov_b32_e32 v11, 0
	v_add_u32_e32 v12, s7, v1
	v_add_u32_e32 v8, v1, v10
	v_mul_u32_u24_e32 v1, 9, v10
	v_lshlrev_b32_e32 v13, 4, v1
	s_mov_b32 s24, 0
	s_movk_i32 s25, 0x90
	v_mov_b32_e32 v14, 4
	s_branch .LBB1_7
.LBB1_6:                                ;   in Loop: Header=BB1_7 Depth=1
	s_or_b64 exec, exec, s[14:15]
	s_addk_i32 s24, 0x100
	s_add_i32 s23, s23, -1
	s_cmp_lg_u32 s23, 0
	s_cbranch_scc0 .LBB1_14
.LBB1_7:                                ; =>This Loop Header: Depth=1
                                        ;     Child Loop BB1_10 Depth 2
	s_waitcnt vmcnt(0)
	s_barrier
	s_and_saveexec_b64 s[14:15], s[4:5]
	s_cbranch_execz .LBB1_12
; %bb.8:                                ;   in Loop: Header=BB1_7 Depth=1
	s_mov_b64 s[16:17], 0
	v_mov_b32_e32 v3, v0
	s_branch .LBB1_10
.LBB1_9:                                ;   in Loop: Header=BB1_10 Depth=2
	s_or_b64 exec, exec, s[18:19]
	v_add_u32_e32 v3, s20, v3
	v_cmp_lt_u32_e64 s[6:7], s22, v3
	s_or_b64 s[16:17], s[6:7], s[16:17]
	s_andn2_b64 exec, exec, s[16:17]
	s_cbranch_execz .LBB1_12
.LBB1_10:                               ;   Parent Loop BB1_7 Depth=1
                                        ; =>  This Inner Loop Header: Depth=2
	v_add_u32_e32 v1, s24, v3
	v_cmp_gt_i32_e64 s[6:7], s21, v1
	s_and_saveexec_b64 s[18:19], s[6:7]
	s_cbranch_execz .LBB1_9
; %bb.11:                               ;   in Loop: Header=BB1_10 Depth=2
	v_ashrrev_i32_e32 v2, 31, v1
	v_lshlrev_b64 v[1:2], 4, v[1:2]
	v_mov_b32_e32 v4, s11
	v_add_co_u32_e64 v1, s[6:7], s10, v1
	v_addc_co_u32_e64 v2, s[6:7], v4, v2, s[6:7]
	global_load_dwordx4 v[15:18], v[1:2], off
	v_and_b32_e32 v2, 7, v3
	v_lshrrev_b32_e32 v1, 3, v3
	v_lshlrev_b32_e32 v2, 4, v2
	v_mad_i32_i24 v1, v1, s25, v2
	s_waitcnt vmcnt(0)
	ds_write_b128 v1, v[15:18]
	s_branch .LBB1_9
.LBB1_12:                               ;   in Loop: Header=BB1_7 Depth=1
	s_or_b64 exec, exec, s[14:15]
	v_cmp_lt_i32_e64 s[6:7], v8, v12
	s_and_b64 s[6:7], vcc, s[6:7]
	s_waitcnt lgkmcnt(0)
	s_barrier
	s_and_saveexec_b64 s[14:15], s[6:7]
	s_cbranch_execz .LBB1_6
; %bb.13:                               ;   in Loop: Header=BB1_7 Depth=1
	v_ashrrev_i32_e32 v9, 31, v8
	v_lshlrev_b64 v[1:2], 4, v[8:9]
	v_mov_b32_e32 v3, s9
	v_add_co_u32_e64 v1, s[6:7], s8, v1
	v_addc_co_u32_e64 v2, s[6:7], v3, v2, s[6:7]
	global_load_dwordx4 v[1:4], v[1:2], off
	ds_read_b128 v[19:22], v13
	v_add_u32_e32 v8, 32, v8
	s_waitcnt vmcnt(0)
	v_lshlrev_b32_sdwa v9, v14, v1 dst_sel:DWORD dst_unused:UNUSED_PAD src0_sel:DWORD src1_sel:WORD_0
	v_add_co_u32_e64 v15, s[6:7], v6, v9
	v_addc_co_u32_e64 v16, s[6:7], 0, v7, s[6:7]
	global_load_dwordx4 v[15:18], v[15:16], off
	v_lshlrev_b32_sdwa v9, v14, v1 dst_sel:DWORD dst_unused:UNUSED_PAD src0_sel:DWORD src1_sel:WORD_1
	s_waitcnt vmcnt(0) lgkmcnt(0)
	v_pk_fma_f16 v1, v15, v19, 0
	v_pk_fma_f16 v1, v16, v20, v1
	v_add_co_u32_e64 v15, s[6:7], v6, v9
	v_pk_fma_f16 v1, v17, v21, v1
	v_addc_co_u32_e64 v16, s[6:7], 0, v7, s[6:7]
	v_pk_fma_f16 v1, v18, v22, v1
	global_load_dwordx4 v[15:18], v[15:16], off
	ds_read_b128 v[19:22], v13 offset:16
	s_waitcnt vmcnt(0) lgkmcnt(0)
	v_pk_fma_f16 v9, v15, v19, 0
	v_lshlrev_b32_sdwa v15, v14, v2 dst_sel:DWORD dst_unused:UNUSED_PAD src0_sel:DWORD src1_sel:WORD_0
	v_pk_fma_f16 v9, v16, v20, v9
	v_add_co_u32_e64 v15, s[6:7], v6, v15
	v_pk_fma_f16 v9, v17, v21, v9
	v_addc_co_u32_e64 v16, s[6:7], 0, v7, s[6:7]
	v_pk_fma_f16 v9, v18, v22, v9
	global_load_dwordx4 v[15:18], v[15:16], off
	ds_read_b128 v[19:22], v13 offset:32
	v_lshlrev_b32_sdwa v2, v14, v2 dst_sel:DWORD dst_unused:UNUSED_PAD src0_sel:DWORD src1_sel:WORD_1
	s_waitcnt vmcnt(0) lgkmcnt(0)
	v_pk_fma_f16 v15, v15, v19, 0
	v_pk_fma_f16 v15, v16, v20, v15
	;; [unrolled: 1-line block ×4, first 2 shown]
	v_add_co_u32_e64 v15, s[6:7], v6, v2
	v_addc_co_u32_e64 v16, s[6:7], 0, v7, s[6:7]
	global_load_dwordx4 v[15:18], v[15:16], off
	ds_read_b128 v[19:22], v13 offset:48
	s_waitcnt vmcnt(0) lgkmcnt(0)
	v_pk_fma_f16 v2, v15, v19, 0
	v_pk_fma_f16 v2, v16, v20, v2
	;; [unrolled: 1-line block ×4, first 2 shown]
	v_lshlrev_b32_sdwa v2, v14, v3 dst_sel:DWORD dst_unused:UNUSED_PAD src0_sel:DWORD src1_sel:WORD_0
	v_add_co_u32_e64 v15, s[6:7], v6, v2
	v_addc_co_u32_e64 v16, s[6:7], 0, v7, s[6:7]
	global_load_dwordx4 v[15:18], v[15:16], off
	ds_read_b128 v[19:22], v13 offset:64
	s_waitcnt vmcnt(0) lgkmcnt(0)
	v_pk_fma_f16 v2, v15, v19, 0
	v_pk_fma_f16 v2, v16, v20, v2
	v_pk_fma_f16 v2, v17, v21, v2
	v_pk_fma_f16 v25, v18, v22, v2
	v_lshlrev_b32_sdwa v2, v14, v3 dst_sel:DWORD dst_unused:UNUSED_PAD src0_sel:DWORD src1_sel:WORD_1
	v_add_co_u32_e64 v2, s[6:7], v6, v2
	v_addc_co_u32_e64 v3, s[6:7], 0, v7, s[6:7]
	global_load_dwordx4 v[15:18], v[2:3], off
	ds_read_b128 v[19:22], v13 offset:80
	s_waitcnt vmcnt(0) lgkmcnt(0)
	v_pk_fma_f16 v2, v15, v19, 0
	v_pk_fma_f16 v2, v16, v20, v2
	;; [unrolled: 1-line block ×4, first 2 shown]
	v_lshlrev_b32_sdwa v2, v14, v4 dst_sel:DWORD dst_unused:UNUSED_PAD src0_sel:DWORD src1_sel:WORD_0
	v_add_co_u32_e64 v2, s[6:7], v6, v2
	v_addc_co_u32_e64 v3, s[6:7], 0, v7, s[6:7]
	global_load_dwordx4 v[15:18], v[2:3], off
	ds_read_b128 v[19:22], v13 offset:96
	s_waitcnt vmcnt(0) lgkmcnt(0)
	v_pk_fma_f16 v2, v15, v19, 0
	v_pk_fma_f16 v2, v16, v20, v2
	;; [unrolled: 1-line block ×4, first 2 shown]
	v_lshlrev_b32_sdwa v2, v14, v4 dst_sel:DWORD dst_unused:UNUSED_PAD src0_sel:DWORD src1_sel:WORD_1
	v_add_co_u32_e64 v2, s[6:7], v6, v2
	v_addc_co_u32_e64 v3, s[6:7], 0, v7, s[6:7]
	global_load_dwordx4 v[15:18], v[2:3], off
	ds_read_b128 v[19:22], v13 offset:112
	v_cvt_f32_f16_e32 v3, v1
	v_cvt_f32_f16_sdwa v1, v1 dst_sel:DWORD dst_unused:UNUSED_PAD src0_sel:WORD_1
	v_cvt_f32_f16_e32 v4, v9
	v_cvt_f32_f16_sdwa v9, v9 dst_sel:DWORD dst_unused:UNUSED_PAD src0_sel:WORD_1
	v_add_f32_e32 v1, v3, v1
	v_add_f32_e32 v1, v11, v1
	;; [unrolled: 1-line block ×3, first 2 shown]
	v_cvt_f32_f16_e32 v3, v27
	v_add_f32_e32 v1, v1, v4
	s_waitcnt vmcnt(0) lgkmcnt(0)
	v_pk_fma_f16 v2, v15, v19, 0
	v_pk_fma_f16 v2, v16, v20, v2
	;; [unrolled: 1-line block ×3, first 2 shown]
	v_cvt_f32_f16_e32 v15, v23
	v_cvt_f32_f16_sdwa v16, v23 dst_sel:DWORD dst_unused:UNUSED_PAD src0_sel:WORD_1
	v_pk_fma_f16 v2, v18, v22, v2
	v_cvt_f32_f16_e32 v17, v24
	v_cvt_f32_f16_sdwa v18, v24 dst_sel:DWORD dst_unused:UNUSED_PAD src0_sel:WORD_1
	v_cvt_f32_f16_e32 v19, v25
	v_cvt_f32_f16_sdwa v20, v25 dst_sel:DWORD dst_unused:UNUSED_PAD src0_sel:WORD_1
	;; [unrolled: 2-line block ×3, first 2 shown]
	v_cvt_f32_f16_sdwa v23, v27 dst_sel:DWORD dst_unused:UNUSED_PAD src0_sel:WORD_1
	v_add_f32_e32 v15, v15, v16
	v_cvt_f32_f16_e32 v9, v2
	v_cvt_f32_f16_sdwa v2, v2 dst_sel:DWORD dst_unused:UNUSED_PAD src0_sel:WORD_1
	v_add_f32_e32 v16, v17, v18
	v_add_f32_e32 v1, v1, v15
	v_add_f32_e32 v17, v19, v20
	v_add_f32_e32 v1, v1, v16
	v_add_f32_e32 v18, v21, v22
	v_add_f32_e32 v1, v1, v17
	v_add_f32_e32 v3, v3, v23
	v_add_f32_e32 v1, v1, v18
	v_add_f32_e32 v2, v9, v2
	v_add_f32_e32 v1, v1, v3
	v_add_f32_e32 v11, v1, v2
	s_branch .LBB1_6
.LBB1_14:
	s_and_saveexec_b64 s[4:5], vcc
	s_cbranch_execz .LBB1_17
; %bb.15:
	v_mbcnt_lo_u32_b32 v0, -1, 0
	v_mbcnt_hi_u32_b32 v0, -1, v0
	v_and_b32_e32 v1, 63, v0
	v_cmp_gt_u32_e32 vcc, 48, v1
	v_cndmask_b32_e64 v2, 0, 16, vcc
	v_add_lshl_u32 v2, v2, v0, 2
	ds_bpermute_b32 v2, v2, v11
	v_cmp_gt_u32_e32 vcc, 56, v1
	v_cndmask_b32_e64 v3, 0, 8, vcc
	v_add_lshl_u32 v3, v3, v0, 2
	v_cmp_gt_u32_e32 vcc, 60, v1
	s_waitcnt lgkmcnt(0)
	v_add_f32_e32 v2, v11, v2
	ds_bpermute_b32 v3, v3, v2
	v_cndmask_b32_e64 v4, 0, 4, vcc
	v_add_lshl_u32 v4, v4, v0, 2
	v_cmp_gt_u32_e32 vcc, 62, v1
	s_waitcnt lgkmcnt(0)
	v_add_f32_e32 v2, v2, v3
	ds_bpermute_b32 v3, v4, v2
	v_cndmask_b32_e64 v4, 0, 2, vcc
	v_add_lshl_u32 v4, v4, v0, 2
	v_cmp_ne_u32_e32 vcc, 63, v1
	v_addc_co_u32_e32 v1, vcc, 0, v0, vcc
	s_waitcnt lgkmcnt(0)
	v_add_f32_e32 v2, v2, v3
	ds_bpermute_b32 v3, v4, v2
	v_lshlrev_b32_e32 v1, 2, v1
	v_cmp_eq_u32_e32 vcc, 0, v10
	s_waitcnt lgkmcnt(0)
	v_add_f32_e32 v0, v2, v3
	ds_bpermute_b32 v1, v1, v0
	s_and_b64 exec, exec, vcc
	s_cbranch_execz .LBB1_17
; %bb.16:
	s_waitcnt lgkmcnt(0)
	v_add_f32_e32 v2, v0, v1
	v_ashrrev_i32_e32 v6, 31, v5
	v_lshlrev_b64 v[0:1], 1, v[5:6]
	v_cvt_f16_f32_e32 v2, v2
	v_mov_b32_e32 v3, s13
	v_add_co_u32_e32 v0, vcc, s12, v0
	v_addc_co_u32_e32 v1, vcc, v3, v1, vcc
	global_store_short v[0:1], v2, off
.LBB1_17:
	s_endpgm
	.section	.rodata,"a",@progbits
	.p2align	6, 0x0
	.amdhsa_kernel _Z14Code1x16MatVecILj32EEvPK15HIP_vector_typeIiLj4EES3_PS1_S3_iiS1_i
		.amdhsa_group_segment_fixed_size 4608
		.amdhsa_private_segment_fixed_size 32
		.amdhsa_kernarg_size 328
		.amdhsa_user_sgpr_count 6
		.amdhsa_user_sgpr_private_segment_buffer 1
		.amdhsa_user_sgpr_dispatch_ptr 0
		.amdhsa_user_sgpr_queue_ptr 0
		.amdhsa_user_sgpr_kernarg_segment_ptr 1
		.amdhsa_user_sgpr_dispatch_id 0
		.amdhsa_user_sgpr_flat_scratch_init 0
		.amdhsa_user_sgpr_private_segment_size 0
		.amdhsa_uses_dynamic_stack 0
		.amdhsa_system_sgpr_private_segment_wavefront_offset 1
		.amdhsa_system_sgpr_workgroup_id_x 1
		.amdhsa_system_sgpr_workgroup_id_y 0
		.amdhsa_system_sgpr_workgroup_id_z 0
		.amdhsa_system_sgpr_workgroup_info 0
		.amdhsa_system_vgpr_workitem_id 0
		.amdhsa_next_free_vgpr 29
		.amdhsa_next_free_sgpr 61
		.amdhsa_reserve_vcc 1
		.amdhsa_reserve_flat_scratch 0
		.amdhsa_float_round_mode_32 0
		.amdhsa_float_round_mode_16_64 0
		.amdhsa_float_denorm_mode_32 3
		.amdhsa_float_denorm_mode_16_64 3
		.amdhsa_dx10_clamp 1
		.amdhsa_ieee_mode 1
		.amdhsa_fp16_overflow 0
		.amdhsa_exception_fp_ieee_invalid_op 0
		.amdhsa_exception_fp_denorm_src 0
		.amdhsa_exception_fp_ieee_div_zero 0
		.amdhsa_exception_fp_ieee_overflow 0
		.amdhsa_exception_fp_ieee_underflow 0
		.amdhsa_exception_fp_ieee_inexact 0
		.amdhsa_exception_int_div_zero 0
	.end_amdhsa_kernel
	.section	.text._Z14Code1x16MatVecILj32EEvPK15HIP_vector_typeIiLj4EES3_PS1_S3_iiS1_i,"axG",@progbits,_Z14Code1x16MatVecILj32EEvPK15HIP_vector_typeIiLj4EES3_PS1_S3_iiS1_i,comdat
.Lfunc_end1:
	.size	_Z14Code1x16MatVecILj32EEvPK15HIP_vector_typeIiLj4EES3_PS1_S3_iiS1_i, .Lfunc_end1-_Z14Code1x16MatVecILj32EEvPK15HIP_vector_typeIiLj4EES3_PS1_S3_iiS1_i
                                        ; -- End function
	.set _Z14Code1x16MatVecILj32EEvPK15HIP_vector_typeIiLj4EES3_PS1_S3_iiS1_i.num_vgpr, 28
	.set _Z14Code1x16MatVecILj32EEvPK15HIP_vector_typeIiLj4EES3_PS1_S3_iiS1_i.num_agpr, 0
	.set _Z14Code1x16MatVecILj32EEvPK15HIP_vector_typeIiLj4EES3_PS1_S3_iiS1_i.numbered_sgpr, 26
	.set _Z14Code1x16MatVecILj32EEvPK15HIP_vector_typeIiLj4EES3_PS1_S3_iiS1_i.num_named_barrier, 0
	.set _Z14Code1x16MatVecILj32EEvPK15HIP_vector_typeIiLj4EES3_PS1_S3_iiS1_i.private_seg_size, 32
	.set _Z14Code1x16MatVecILj32EEvPK15HIP_vector_typeIiLj4EES3_PS1_S3_iiS1_i.uses_vcc, 1
	.set _Z14Code1x16MatVecILj32EEvPK15HIP_vector_typeIiLj4EES3_PS1_S3_iiS1_i.uses_flat_scratch, 0
	.set _Z14Code1x16MatVecILj32EEvPK15HIP_vector_typeIiLj4EES3_PS1_S3_iiS1_i.has_dyn_sized_stack, 0
	.set _Z14Code1x16MatVecILj32EEvPK15HIP_vector_typeIiLj4EES3_PS1_S3_iiS1_i.has_recursion, 0
	.set _Z14Code1x16MatVecILj32EEvPK15HIP_vector_typeIiLj4EES3_PS1_S3_iiS1_i.has_indirect_call, 0
	.section	.AMDGPU.csdata,"",@progbits
; Kernel info:
; codeLenInByte = 1640
; TotalNumSgprs: 30
; NumVgprs: 28
; ScratchSize: 32
; MemoryBound: 0
; FloatMode: 240
; IeeeMode: 1
; LDSByteSize: 4608 bytes/workgroup (compile time only)
; SGPRBlocks: 8
; VGPRBlocks: 7
; NumSGPRsForWavesPerEU: 65
; NumVGPRsForWavesPerEU: 29
; Occupancy: 8
; WaveLimiterHint : 1
; COMPUTE_PGM_RSRC2:SCRATCH_EN: 1
; COMPUTE_PGM_RSRC2:USER_SGPR: 6
; COMPUTE_PGM_RSRC2:TRAP_HANDLER: 0
; COMPUTE_PGM_RSRC2:TGID_X_EN: 1
; COMPUTE_PGM_RSRC2:TGID_Y_EN: 0
; COMPUTE_PGM_RSRC2:TGID_Z_EN: 0
; COMPUTE_PGM_RSRC2:TIDIG_COMP_CNT: 0
	.section	.AMDGPU.gpr_maximums,"",@progbits
	.set amdgpu.max_num_vgpr, 0
	.set amdgpu.max_num_agpr, 0
	.set amdgpu.max_num_sgpr, 0
	.section	.AMDGPU.csdata,"",@progbits
	.type	__hip_cuid_c71a6ac6762f9a44,@object ; @__hip_cuid_c71a6ac6762f9a44
	.section	.bss,"aw",@nobits
	.globl	__hip_cuid_c71a6ac6762f9a44
__hip_cuid_c71a6ac6762f9a44:
	.byte	0                               ; 0x0
	.size	__hip_cuid_c71a6ac6762f9a44, 1

	.ident	"AMD clang version 22.0.0git (https://github.com/RadeonOpenCompute/llvm-project roc-7.2.4 26084 f58b06dce1f9c15707c5f808fd002e18c2accf7e)"
	.section	".note.GNU-stack","",@progbits
	.addrsig
	.addrsig_sym __hip_cuid_c71a6ac6762f9a44
	.amdgpu_metadata
---
amdhsa.kernels:
  - .args:
      - .actual_access:  read_only
        .address_space:  global
        .offset:         0
        .size:           8
        .value_kind:     global_buffer
      - .actual_access:  read_only
        .address_space:  global
        .offset:         8
        .size:           8
        .value_kind:     global_buffer
      - .actual_access:  write_only
        .address_space:  global
        .offset:         16
        .size:           8
        .value_kind:     global_buffer
      - .actual_access:  read_only
        .address_space:  global
        .offset:         24
        .size:           8
        .value_kind:     global_buffer
      - .offset:         32
        .size:           4
        .value_kind:     by_value
      - .offset:         36
        .size:           4
        .value_kind:     by_value
      - .offset:         48
        .size:           16
        .value_kind:     by_value
      - .offset:         64
        .size:           4
        .value_kind:     by_value
      - .offset:         72
        .size:           4
        .value_kind:     hidden_block_count_x
      - .offset:         76
        .size:           4
        .value_kind:     hidden_block_count_y
      - .offset:         80
        .size:           4
        .value_kind:     hidden_block_count_z
      - .offset:         84
        .size:           2
        .value_kind:     hidden_group_size_x
      - .offset:         86
        .size:           2
        .value_kind:     hidden_group_size_y
      - .offset:         88
        .size:           2
        .value_kind:     hidden_group_size_z
      - .offset:         90
        .size:           2
        .value_kind:     hidden_remainder_x
      - .offset:         92
        .size:           2
        .value_kind:     hidden_remainder_y
      - .offset:         94
        .size:           2
        .value_kind:     hidden_remainder_z
      - .offset:         112
        .size:           8
        .value_kind:     hidden_global_offset_x
      - .offset:         120
        .size:           8
        .value_kind:     hidden_global_offset_y
      - .offset:         128
        .size:           8
        .value_kind:     hidden_global_offset_z
      - .offset:         136
        .size:           2
        .value_kind:     hidden_grid_dims
    .group_segment_fixed_size: 9216
    .kernarg_segment_align: 16
    .kernarg_segment_size: 328
    .language:       OpenCL C
    .language_version:
      - 2
      - 0
    .max_flat_workgroup_size: 1024
    .name:           _Z14Code1x16MatVecILj64EEvPK15HIP_vector_typeIiLj4EES3_PS1_S3_iiS1_i
    .private_segment_fixed_size: 32
    .sgpr_count:     30
    .sgpr_spill_count: 0
    .symbol:         _Z14Code1x16MatVecILj64EEvPK15HIP_vector_typeIiLj4EES3_PS1_S3_iiS1_i.kd
    .uniform_work_group_size: 1
    .uses_dynamic_stack: false
    .vgpr_count:     28
    .vgpr_spill_count: 0
    .wavefront_size: 64
  - .args:
      - .actual_access:  read_only
        .address_space:  global
        .offset:         0
        .size:           8
        .value_kind:     global_buffer
      - .actual_access:  read_only
        .address_space:  global
        .offset:         8
        .size:           8
        .value_kind:     global_buffer
      - .actual_access:  write_only
        .address_space:  global
        .offset:         16
        .size:           8
        .value_kind:     global_buffer
      - .actual_access:  read_only
        .address_space:  global
        .offset:         24
        .size:           8
        .value_kind:     global_buffer
      - .offset:         32
        .size:           4
        .value_kind:     by_value
      - .offset:         36
        .size:           4
        .value_kind:     by_value
      - .offset:         48
        .size:           16
        .value_kind:     by_value
      - .offset:         64
        .size:           4
        .value_kind:     by_value
      - .offset:         72
        .size:           4
        .value_kind:     hidden_block_count_x
      - .offset:         76
        .size:           4
        .value_kind:     hidden_block_count_y
      - .offset:         80
        .size:           4
        .value_kind:     hidden_block_count_z
      - .offset:         84
        .size:           2
        .value_kind:     hidden_group_size_x
      - .offset:         86
        .size:           2
        .value_kind:     hidden_group_size_y
      - .offset:         88
        .size:           2
        .value_kind:     hidden_group_size_z
      - .offset:         90
        .size:           2
        .value_kind:     hidden_remainder_x
      - .offset:         92
        .size:           2
        .value_kind:     hidden_remainder_y
      - .offset:         94
        .size:           2
        .value_kind:     hidden_remainder_z
      - .offset:         112
        .size:           8
        .value_kind:     hidden_global_offset_x
      - .offset:         120
        .size:           8
        .value_kind:     hidden_global_offset_y
      - .offset:         128
        .size:           8
        .value_kind:     hidden_global_offset_z
      - .offset:         136
        .size:           2
        .value_kind:     hidden_grid_dims
    .group_segment_fixed_size: 4608
    .kernarg_segment_align: 16
    .kernarg_segment_size: 328
    .language:       OpenCL C
    .language_version:
      - 2
      - 0
    .max_flat_workgroup_size: 1024
    .name:           _Z14Code1x16MatVecILj32EEvPK15HIP_vector_typeIiLj4EES3_PS1_S3_iiS1_i
    .private_segment_fixed_size: 32
    .sgpr_count:     30
    .sgpr_spill_count: 0
    .symbol:         _Z14Code1x16MatVecILj32EEvPK15HIP_vector_typeIiLj4EES3_PS1_S3_iiS1_i.kd
    .uniform_work_group_size: 1
    .uses_dynamic_stack: false
    .vgpr_count:     28
    .vgpr_spill_count: 0
    .wavefront_size: 64
amdhsa.target:   amdgcn-amd-amdhsa--gfx906
amdhsa.version:
  - 1
  - 2
...

	.end_amdgpu_metadata
